;; amdgpu-corpus repo=linkedin/Liger-Kernel kind=triton arch=gfx950 opt=O3 lang=triton
	.amdgcn_target "amdgcn-amd-amdhsa--gfx950"
	.amdhsa_code_object_version 5
	.text
	.globl	_fused_add_rms_norm_backward_kernel ; -- Begin function _fused_add_rms_norm_backward_kernel
	.p2align	8
	.type	_fused_add_rms_norm_backward_kernel,@function
_fused_add_rms_norm_backward_kernel:    ; @_fused_add_rms_norm_backward_kernel
.Lfunc_begin0:
	.cfi_sections .debug_frame
	.cfi_startproc
; %bb.11:
	.file	1 "/root/src/amdgpu-assembly/repos/linkedin__Liger-Kernel/triton_aot_kernels" "fused_add_rms_norm_aot.py"
	.loc	1 102 0 prologue_end            ; fused_add_rms_norm_aot.py:102:0
	s_load_dwordx2 s[2:3], s[0:1], 0x0
	s_load_dwordx8 s[4:11], s[0:1], 0x8
	s_load_dwordx4 s[12:15], s[0:1], 0x28
	s_waitcnt lgkmcnt(0)
	s_branch .LBB0_0
	.loc	1 0 0 is_stmt 0                 ; :0:0
.Ltmp0:
	.p2align	8
; %bb.12:
.LBB0_0:
	s_load_dwordx2 s[20:21], s[0:1], 0x6c
	s_load_dwordx2 s[40:41], s[0:1], 0x60
.Ltmp1:
	.file	2 "/root/.local/lib/python3.13/site-packages/triton/language" "standard.py"
	.loc	2 293 36 is_stmt 1              ; standard.py:293:36 @[ fused_add_rms_norm_aot.py:184:21 ]
	v_readfirstlane_b32 s33, v0
.Ltmp2:
	.loc	1 144 39                        ; fused_add_rms_norm_aot.py:144:39
	s_ashr_i32 s17, s16, 31
	.loc	1 147 31                        ; fused_add_rms_norm_aot.py:147:31
	v_and_b32_e32 v1, 63, v0
	s_waitcnt lgkmcnt(0)
	s_ashr_i32 s23, s20, 31
	s_mov_b32 s22, s20
	s_and_b32 s5, s33, 0x1c0
	.loc	1 145 31                        ; fused_add_rms_norm_aot.py:145:31
	s_lshl_b64 s[42:43], s[16:17], 2
	.loc	1 147 31                        ; fused_add_rms_norm_aot.py:147:31
	v_or_b32_e32 v39, s5, v1
	.loc	1 155 36                        ; fused_add_rms_norm_aot.py:155:36
	v_mov_b64_e32 v[2:3], s[22:23]
	.loc	1 147 31                        ; fused_add_rms_norm_aot.py:147:31
	v_or_b32_e32 v38, 0x200, v39
	v_or_b32_e32 v37, 0x400, v39
	;; [unrolled: 1-line block ×7, first 2 shown]
	.loc	1 155 36                        ; fused_add_rms_norm_aot.py:155:36
	v_cmp_ge_i64_e32 vcc, s[42:43], v[2:3]
	.loc	1 148 25                        ; fused_add_rms_norm_aot.py:148:25
	v_cmp_gt_i32_e64 s[18:19], s21, v39
	v_cmp_gt_i32_e64 s[34:35], s21, v38
	;; [unrolled: 1-line block ×8, first 2 shown]
	v_mov_b32_e32 v40, 0
	.loc	1 155 36                        ; fused_add_rms_norm_aot.py:155:36
	s_cbranch_vccnz .LBB0_9
; %bb.1:                                ; %.lr.ph
	.loc	1 146 39                        ; fused_add_rms_norm_aot.py:146:39
	s_add_u32 s38, s42, 4
	s_addc_u32 s39, s43, 0
	.loc	1 146 57 is_stmt 0              ; fused_add_rms_norm_aot.py:146:57
	v_mov_b64_e32 v[2:3], s[22:23]
	v_cmp_lt_i64_e32 vcc, s[38:39], v[2:3]
	.loc	1 152 20 is_stmt 1              ; fused_add_rms_norm_aot.py:152:20
	v_lshlrev_b32_e32 v2, 1, v39
	v_bfrev_b32_e32 v3, 1
	v_cndmask_b32_e64 v41, v3, v2, s[18:19]
	v_lshlrev_b32_e32 v2, 1, v38
	v_cndmask_b32_e64 v42, v3, v2, s[34:35]
	v_lshlrev_b32_e32 v2, 1, v37
	;; [unrolled: 2-line block ×3, first 2 shown]
	s_load_dwordx2 s[36:37], s[0:1], 0x40
	s_load_dwordx2 s[48:49], s[0:1], 0x50
	s_load_dword s50, s[0:1], 0x58
	v_cndmask_b32_e64 v44, v3, v2, s[8:9]
	v_lshlrev_b32_e32 v2, 1, v35
	v_cndmask_b32_e64 v45, v3, v2, s[6:7]
	v_lshlrev_b32_e32 v2, 1, v34
	.loc	1 146 57                        ; fused_add_rms_norm_aot.py:146:57
	s_and_b64 s[44:45], vcc, exec
	.loc	1 152 20                        ; fused_add_rms_norm_aot.py:152:20
	v_cndmask_b32_e64 v46, v3, v2, s[24:25]
	v_lshlrev_b32_e32 v2, 1, v33
	.loc	1 146 57                        ; fused_add_rms_norm_aot.py:146:57
	s_cselect_b32 s45, s39, s23
	s_cselect_b32 s44, s38, s22
	.loc	1 152 20                        ; fused_add_rms_norm_aot.py:152:20
	s_waitcnt lgkmcnt(0)
	s_and_b32 s37, s37, 0xffff
	s_mov_b32 s39, 0x27000
	s_mov_b32 s38, 0x7ffffffe
	v_cndmask_b32_e64 v47, v3, v2, s[26:27]
	v_lshlrev_b32_e32 v2, 1, v32
	v_cndmask_b32_e64 v48, v3, v2, s[30:31]
	buffer_load_ushort v2, v42, s[36:39], 0 offen
	buffer_load_ushort v3, v41, s[36:39], 0 offen
	;; [unrolled: 1-line block ×8, first 2 shown]
	.loc	1 185 20                        ; fused_add_rms_norm_aot.py:185:20
	v_cvt_f32_i32_e32 v10, s21
	v_cmp_gt_u32_e64 s[22:23], 8, v0
	v_lshl_add_u32 v49, v0, 2, 0
	v_and_b32_e32 v0, 7, v0
	v_cmp_eq_u32_e32 vcc, 0, v0
	v_div_scale_f32 v0, s[36:37], v10, v10, -1.0
	v_rcp_f32_e32 v11, v0
	v_cmp_eq_u32_e64 s[20:21], 0, v1
	v_div_scale_f32 v1, s[36:37], -1.0, v10, -1.0
	v_fma_f32 v12, -v0, v11, 1.0
	v_fmac_f32_e32 v11, v12, v11
	v_mul_f32_e32 v12, v1, v11
	v_fma_f32 v13, -v0, v12, v1
	s_load_dword s52, s[0:1], 0x38
	s_load_dword s54, s[0:1], 0x74
	v_fmac_f32_e32 v12, v13, v11
	s_and_b64 s[46:47], s[22:23], vcc
	v_fma_f32 v0, -v0, v12, v1
	s_mov_b64 vcc, s[36:37]
	s_lshr_b32 s17, s33, 4
	v_div_fmas_f32 v0, v0, v11, v12
	s_and_b32 s17, s17, 28
	.loc	1 155 36                        ; fused_add_rms_norm_aot.py:155:36
	s_mul_hi_i32 s57, s16, s50
	s_mul_i32 s56, s16, s50
	.loc	1 185 20                        ; fused_add_rms_norm_aot.py:185:20
	v_div_fixup_f32 v0, v0, v10, -1.0
	.loc	1 156 37                        ; fused_add_rms_norm_aot.py:156:37
	s_ashr_i32 s5, s4, 31
	.loc	1 157 37                        ; fused_add_rms_norm_aot.py:157:37
	s_ashr_i32 s13, s12, 31
	.loc	1 158 35                        ; fused_add_rms_norm_aot.py:158:35
	s_waitcnt lgkmcnt(0)
	s_ashr_i32 s53, s52, 31
	.loc	1 159 41                        ; fused_add_rms_norm_aot.py:159:41
	s_ashr_i32 s51, s50, 31
	s_add_i32 s17, s17, 0
	.loc	1 155 36                        ; fused_add_rms_norm_aot.py:155:36
	s_lshl_b64 s[56:57], s[56:57], 3
	.loc	1 185 14                        ; fused_add_rms_norm_aot.py:185:14
	v_add_f32_e32 v50, 0, v0
	.loc	1 155 36                        ; fused_add_rms_norm_aot.py:155:36
	s_mul_hi_i32 s59, s16, s52
	s_mul_i32 s58, s16, s52
	s_add_u32 s48, s48, s56
	s_addc_u32 s49, s49, s57
	s_lshl_b64 s[50:51], s[50:51], 1
	s_lshl_b64 s[56:57], s[58:59], 3
	s_add_u32 s33, s14, s56
	s_mul_hi_i32 s37, s16, s12
	s_mul_i32 s36, s16, s12
	v_mov_b32_e32 v51, 0
	.loc	1 153 20                        ; fused_add_rms_norm_aot.py:153:20
	s_waitcnt vmcnt(7)
	v_cvt_f32_f16_e32 v1, v2
	s_waitcnt vmcnt(6)
	v_cvt_f32_f16_e32 v0, v3
	;; [unrolled: 2-line block ×8, first 2 shown]
	v_pk_add_f32 v[8:9], s[54:55], v[0:1] op_sel_hi:[0,1]
	v_pk_add_f32 v[10:11], s[54:55], v[2:3] op_sel_hi:[0,1]
	;; [unrolled: 1-line block ×4, first 2 shown]
	.loc	1 155 36                        ; fused_add_rms_norm_aot.py:155:36
	s_addc_u32 s54, s15, s57
	s_lshl_b64 s[14:15], s[52:53], 1
	s_lshl_b64 s[36:37], s[36:37], 3
	s_add_u32 s52, s10, s36
	s_addc_u32 s53, s11, s37
	s_lshl_b64 s[10:11], s[12:13], 1
	s_mul_hi_i32 s13, s16, s4
	s_mul_i32 s12, s16, s4
	s_lshl_b64 s[12:13], s[12:13], 3
	s_add_u32 s12, s2, s12
	v_mov_b32_e32 v0, 0
	s_addc_u32 s13, s3, s13
	s_lshl_b64 s[2:3], s[4:5], 1
	s_mov_b32 s55, 0x5040100
	v_mov_b32_e32 v1, v0
	v_mov_b32_e32 v2, v0
	;; [unrolled: 1-line block ×7, first 2 shown]
	s_branch .LBB0_3
.LBB0_2:                                ;   in Loop: Header=BB0_3 Depth=1
	.loc	1 0 36 is_stmt 0                ; fused_add_rms_norm_aot.py:0:36
	s_or_b64 exec, exec, s[4:5]
	.loc	1 169 40 is_stmt 1              ; fused_add_rms_norm_aot.py:169:40
	s_waitcnt vmcnt(0)
	v_cvt_f32_f16_e32 v60, v60
	.loc	1 0 0 is_stmt 0                 ; fused_add_rms_norm_aot.py:0
	v_perm_b32 v61, v55, v54, s55
	v_perm_b32 v62, v57, v56, s55
	;; [unrolled: 1-line block ×3, first 2 shown]
	.loc	1 169 40                        ; fused_add_rms_norm_aot.py:169:40
	v_pk_mul_f32 v[54:55], v[60:61], v[16:17] op_sel_hi:[0,1]
	.loc	1 169 53                        ; fused_add_rms_norm_aot.py:169:53
	v_cvt_pk_f16_f32 v54, v54, v55
	.loc	1 169 31                        ; fused_add_rms_norm_aot.py:169:31
	v_pk_mul_f16 v55, v54, v61
	.loc	1 169 40                        ; fused_add_rms_norm_aot.py:169:40
	v_pk_mul_f32 v[56:57], v[60:61], v[18:19] op_sel_hi:[0,1]
	v_pk_mul_f32 v[58:59], v[60:61], v[20:21] op_sel_hi:[0,1]
	.loc	1 0 0                           ; fused_add_rms_norm_aot.py:0
	v_perm_b32 v61, v53, v52, s55
	.loc	1 169 40                        ; fused_add_rms_norm_aot.py:169:40
	v_pk_mul_f32 v[52:53], v[60:61], v[22:23] op_sel_hi:[0,1]
	.loc	1 169 22                        ; fused_add_rms_norm_aot.py:169:22
	v_cvt_f32_f16_e32 v54, v55
	v_cvt_f32_f16_sdwa v55, v55 dst_sel:DWORD dst_unused:UNUSED_PAD src0_sel:WORD_1
	.loc	1 169 53                        ; fused_add_rms_norm_aot.py:169:53
	v_cvt_pk_f16_f32 v52, v52, v53
	.loc	1 169 31                        ; fused_add_rms_norm_aot.py:169:31
	v_pk_mul_f16 v53, v52, v61
.Ltmp3:
	.loc	2 293 36 is_stmt 1              ; standard.py:293:36 @[ fused_add_rms_norm_aot.py:184:21 ]
	s_waitcnt lgkmcnt(0)
.Ltmp4:
	.loc	1 169 22                        ; fused_add_rms_norm_aot.py:169:22
	v_cvt_f32_f16_e32 v52, v53
	v_cvt_f32_f16_sdwa v53, v53 dst_sel:DWORD dst_unused:UNUSED_PAD src0_sel:WORD_1
	v_pk_add_f32 v[6:7], v[6:7], v[54:55]
.Ltmp5:
	.loc	2 293 36                        ; standard.py:293:36 @[ fused_add_rms_norm_aot.py:184:21 ]
	s_barrier
	ds_read_b32 v54, v51
.Ltmp6:
	.loc	1 169 22                        ; fused_add_rms_norm_aot.py:169:22
	v_pk_add_f32 v[0:1], v[0:1], v[52:53]
	.loc	1 185 30                        ; fused_add_rms_norm_aot.py:185:30
	v_mul_f32_e32 v52, v50, v60
	.loc	1 185 41 is_stmt 0              ; fused_add_rms_norm_aot.py:185:41
	v_mul_f32_e32 v52, v52, v60
	.loc	1 185 52                        ; fused_add_rms_norm_aot.py:185:52
	v_mul_f32_e32 v52, v52, v60
	.loc	1 185 63                        ; fused_add_rms_norm_aot.py:185:63
	s_waitcnt lgkmcnt(0)
	v_mul_f32_e32 v52, v52, v54
	.loc	1 193 40 is_stmt 1              ; fused_add_rms_norm_aot.py:193:40
	s_and_b32 s37, s53, 0xffff
	.loc	1 186 36                        ; fused_add_rms_norm_aot.py:186:36
	v_pk_mul_f32 v[16:17], v[52:53], v[16:17] op_sel_hi:[0,1]
	.loc	1 155 36                        ; fused_add_rms_norm_aot.py:155:36
	s_add_u32 s42, s42, 1
	.loc	1 186 32                        ; fused_add_rms_norm_aot.py:186:32
	v_pk_fma_f32 v[16:17], v[30:31], v[60:61], v[16:17] op_sel_hi:[1,0,1]
	.loc	1 186 36 is_stmt 0              ; fused_add_rms_norm_aot.py:186:36
	v_pk_mul_f32 v[18:19], v[52:53], v[18:19] op_sel_hi:[0,1]
	.loc	1 155 36 is_stmt 1              ; fused_add_rms_norm_aot.py:155:36
	s_addc_u32 s43, s43, 0
	.loc	1 186 32                        ; fused_add_rms_norm_aot.py:186:32
	v_pk_fma_f32 v[18:19], v[28:29], v[60:61], v[18:19] op_sel_hi:[1,0,1]
	.loc	1 186 36 is_stmt 0              ; fused_add_rms_norm_aot.py:186:36
	v_pk_mul_f32 v[20:21], v[52:53], v[20:21] op_sel_hi:[0,1]
	.loc	1 193 50 is_stmt 1              ; fused_add_rms_norm_aot.py:193:50
	v_cvt_pk_f16_f32 v16, v16, v17
	.loc	1 193 40 is_stmt 0              ; fused_add_rms_norm_aot.py:193:40
	s_mov_b32 s36, s52
	.loc	1 155 36 is_stmt 1              ; fused_add_rms_norm_aot.py:155:36
	s_add_u32 s48, s48, s50
	.loc	1 169 53                        ; fused_add_rms_norm_aot.py:169:53
	v_cvt_pk_f16_f32 v56, v56, v57
	v_cvt_pk_f16_f32 v58, v58, v59
	.loc	1 186 32                        ; fused_add_rms_norm_aot.py:186:32
	v_pk_fma_f32 v[20:21], v[26:27], v[60:61], v[20:21] op_sel_hi:[1,0,1]
	.loc	1 186 36 is_stmt 0              ; fused_add_rms_norm_aot.py:186:36
	v_pk_mul_f32 v[22:23], v[52:53], v[22:23] op_sel_hi:[0,1]
	.loc	1 193 50 is_stmt 1              ; fused_add_rms_norm_aot.py:193:50
	v_cvt_pk_f16_f32 v17, v18, v19
	.loc	1 193 40 is_stmt 0              ; fused_add_rms_norm_aot.py:193:40
	buffer_store_short v16, v41, s[36:39], 0 offen
	v_lshrrev_b32_e32 v16, 16, v16
	.loc	1 155 36 is_stmt 1              ; fused_add_rms_norm_aot.py:155:36
	s_addc_u32 s49, s49, s51
	.loc	1 169 31                        ; fused_add_rms_norm_aot.py:169:31
	v_pk_mul_f16 v57, v56, v62
	v_pk_mul_f16 v59, v58, v63
	.loc	1 186 32                        ; fused_add_rms_norm_aot.py:186:32
	v_pk_fma_f32 v[22:23], v[24:25], v[60:61], v[22:23] op_sel_hi:[1,0,1]
	.loc	1 193 50                        ; fused_add_rms_norm_aot.py:193:50
	v_cvt_pk_f16_f32 v18, v20, v21
	.loc	1 193 40 is_stmt 0              ; fused_add_rms_norm_aot.py:193:40
	buffer_store_short v16, v42, s[36:39], 0 offen
	buffer_store_short v17, v43, s[36:39], 0 offen
	v_lshrrev_b32_e32 v16, 16, v17
	.loc	1 155 36 is_stmt 1              ; fused_add_rms_norm_aot.py:155:36
	s_add_u32 s33, s33, s14
	.loc	1 169 22                        ; fused_add_rms_norm_aot.py:169:22
	v_cvt_f32_f16_e32 v56, v57
	v_cvt_f32_f16_sdwa v57, v57 dst_sel:DWORD dst_unused:UNUSED_PAD src0_sel:WORD_1
	v_cvt_f32_f16_e32 v58, v59
	v_cvt_f32_f16_sdwa v59, v59 dst_sel:DWORD dst_unused:UNUSED_PAD src0_sel:WORD_1
	.loc	1 193 50                        ; fused_add_rms_norm_aot.py:193:50
	v_cvt_pk_f16_f32 v19, v22, v23
	.loc	1 193 40 is_stmt 0              ; fused_add_rms_norm_aot.py:193:40
	buffer_store_short v16, v44, s[36:39], 0 offen
	buffer_store_short v18, v45, s[36:39], 0 offen
	v_lshrrev_b32_e32 v16, 16, v18
	.loc	1 155 36 is_stmt 1              ; fused_add_rms_norm_aot.py:155:36
	s_addc_u32 s54, s54, s15
	.loc	1 193 40                        ; fused_add_rms_norm_aot.py:193:40
	buffer_store_short v16, v46, s[36:39], 0 offen
	buffer_store_short v19, v47, s[36:39], 0 offen
	v_lshrrev_b32_e32 v16, 16, v19
	.loc	1 155 36                        ; fused_add_rms_norm_aot.py:155:36
	s_add_u32 s52, s52, s10
	.loc	1 193 40                        ; fused_add_rms_norm_aot.py:193:40
	buffer_store_short v16, v48, s[36:39], 0 offen
	.loc	1 155 36                        ; fused_add_rms_norm_aot.py:155:36
	s_addc_u32 s53, s53, s11
	v_mov_b64_e32 v[16:17], s[44:45]
	s_add_u32 s12, s12, s2
	v_cmp_lt_i64_e32 vcc, s[42:43], v[16:17]
	.loc	1 169 22                        ; fused_add_rms_norm_aot.py:169:22
	v_pk_add_f32 v[4:5], v[4:5], v[56:57]
	v_pk_add_f32 v[2:3], v[2:3], v[58:59]
	.loc	1 155 36                        ; fused_add_rms_norm_aot.py:155:36
	s_addc_u32 s13, s13, s3
	s_cbranch_vccz .LBB0_10
.LBB0_3:                                ; =>This Inner Loop Header: Depth=1
	.loc	1 161 25                        ; fused_add_rms_norm_aot.py:161:25
	s_and_b32 s37, s13, 0xffff
	s_mov_b32 s36, s12
	buffer_load_ushort v54, v41, s[36:39], 0 offen
	buffer_load_ushort v55, v42, s[36:39], 0 offen
	;; [unrolled: 1-line block ×8, first 2 shown]
	.loc	1 162 24                        ; fused_add_rms_norm_aot.py:162:24
	s_and_b32 s37, s54, 0xffff
	s_mov_b32 s36, s33
	buffer_load_ushort v16, v42, s[36:39], 0 offen
	buffer_load_ushort v18, v41, s[36:39], 0 offen
	;; [unrolled: 1-line block ×8, first 2 shown]
	.loc	1 163 27                        ; fused_add_rms_norm_aot.py:163:27
	global_load_ushort v60, v40, s[48:49]
.Ltmp7:
	.loc	2 293 36                        ; standard.py:293:36 @[ fused_add_rms_norm_aot.py:184:21 ]
	s_waitcnt lgkmcnt(0)
	s_barrier
.Ltmp8:
	.loc	1 176 26                        ; fused_add_rms_norm_aot.py:176:26
	s_waitcnt vmcnt(16)
	v_cvt_f32_f16_e32 v24, v54
	s_waitcnt vmcnt(15)
	v_cvt_f32_f16_e32 v25, v55
	;; [unrolled: 2-line block ×6, first 2 shown]
	.loc	1 165 25                        ; fused_add_rms_norm_aot.py:165:25
	s_waitcnt vmcnt(8)
	v_cvt_f32_f16_e32 v17, v16
	s_waitcnt vmcnt(7)
	v_cvt_f32_f16_e32 v16, v18
	.loc	1 176 26                        ; fused_add_rms_norm_aot.py:176:26
	v_cvt_f32_f16_e32 v65, v53
	v_cvt_f32_f16_e32 v64, v52
	.loc	1 165 25                        ; fused_add_rms_norm_aot.py:165:25
	s_waitcnt vmcnt(6)
	v_cvt_f32_f16_e32 v19, v19
	s_waitcnt vmcnt(5)
	v_cvt_f32_f16_e32 v18, v20
	;; [unrolled: 2-line block ×4, first 2 shown]
	.loc	1 176 26                        ; fused_add_rms_norm_aot.py:176:26
	v_pk_mul_f32 v[30:31], v[8:9], v[24:25]
	.loc	1 165 25                        ; fused_add_rms_norm_aot.py:165:25
	s_waitcnt vmcnt(1)
	v_cvt_f32_f16_e32 v22, v28
	.loc	1 176 26                        ; fused_add_rms_norm_aot.py:176:26
	v_pk_mul_f32 v[28:29], v[10:11], v[26:27]
	v_pk_mul_f32 v[26:27], v[12:13], v[62:63]
	.loc	1 184 25                        ; fused_add_rms_norm_aot.py:184:25
	v_pk_mul_f32 v[62:63], v[30:31], v[16:17]
	.loc	1 165 25                        ; fused_add_rms_norm_aot.py:165:25
	v_cvt_f32_f16_e32 v23, v23
	.loc	1 176 26                        ; fused_add_rms_norm_aot.py:176:26
	v_pk_mul_f32 v[24:25], v[14:15], v[64:65]
	.loc	1 184 25                        ; fused_add_rms_norm_aot.py:184:25
	v_pk_mul_f32 v[64:65], v[28:29], v[18:19]
.Ltmp9:
	.loc	2 263 15                        ; standard.py:263:15 @[ standard.py:293:36 @[ fused_add_rms_norm_aot.py:184:21 ] ]
	v_add_f32_e32 v61, v62, v63
	v_add_f32_e32 v61, v61, v64
.Ltmp10:
	.loc	1 184 25                        ; fused_add_rms_norm_aot.py:184:25
	v_pk_mul_f32 v[66:67], v[26:27], v[20:21]
.Ltmp11:
	.loc	2 263 15                        ; standard.py:263:15 @[ standard.py:293:36 @[ fused_add_rms_norm_aot.py:184:21 ] ]
	v_add_f32_e32 v61, v61, v65
	v_add_f32_e32 v61, v61, v66
.Ltmp12:
	.loc	1 184 25                        ; fused_add_rms_norm_aot.py:184:25
	v_pk_mul_f32 v[68:69], v[24:25], v[22:23]
.Ltmp13:
	.loc	2 263 15                        ; standard.py:263:15 @[ standard.py:293:36 @[ fused_add_rms_norm_aot.py:184:21 ] ]
	v_add_f32_e32 v61, v61, v67
	v_add_f32_e32 v61, v61, v68
	v_add_f32_e32 v61, v61, v69
	s_nop 1
	v_add_f32_dpp v61, v61, v61 row_shr:8 row_mask:0xf bank_mask:0xf bound_ctrl:1
	s_nop 1
	v_add_f32_dpp v61, v61, v61 row_shr:4 row_mask:0xf bank_mask:0xf bound_ctrl:1
	s_nop 1
	v_add_f32_dpp v61, v61, v61 row_shr:2 row_mask:0xf bank_mask:0xf bound_ctrl:1
	s_nop 1
	v_add_f32_dpp v61, v61, v61 row_shr:1 row_mask:0xf bank_mask:0xf bound_ctrl:1
.Ltmp14:
	.loc	2 293 36                        ; standard.py:293:36 @[ fused_add_rms_norm_aot.py:184:21 ]
	v_mov_b32_e32 v62, v61
	s_nop 1
	v_mov_b32_dpp v62, v62 row_bcast:15 row_mask:0xa bank_mask:0xf bound_ctrl:1
.Ltmp15:
	.loc	2 263 15                        ; standard.py:263:15 @[ standard.py:293:36 @[ fused_add_rms_norm_aot.py:184:21 ] ]
	v_add_f32_e32 v61, v61, v62
	s_nop 1
	v_add_f32_dpp v61, v61, v61 row_bcast:31 row_mask:0xf bank_mask:0xf bound_ctrl:1
.Ltmp16:
	.loc	2 293 36                        ; standard.py:293:36 @[ fused_add_rms_norm_aot.py:184:21 ]
	s_nop 0
	v_readlane_b32 s36, v61, 63
	s_and_saveexec_b64 s[4:5], s[20:21]
; %bb.4:                                ;   in Loop: Header=BB0_3 Depth=1
	v_mov_b32_e32 v61, s17
	v_mov_b32_e32 v62, s36
	ds_write_b32 v61, v62
.Ltmp17:
; %bb.5:                                ;   in Loop: Header=BB0_3 Depth=1
	.loc	2 0 36 is_stmt 0                ; standard.py:0:36
	s_or_b64 exec, exec, s[4:5]
	.loc	1 184 21 is_stmt 1              ; fused_add_rms_norm_aot.py:184:21
	v_mov_b32_e32 v61, 0
.Ltmp18:
	.loc	2 293 36                        ; standard.py:293:36 @[ fused_add_rms_norm_aot.py:184:21 ]
	s_waitcnt lgkmcnt(0)
	s_barrier
	s_and_saveexec_b64 s[4:5], s[22:23]
; %bb.6:                                ;   in Loop: Header=BB0_3 Depth=1
	ds_read_b32 v61, v49
; %bb.7:                                ;   in Loop: Header=BB0_3 Depth=1
	.loc	2 0 36 is_stmt 0                ; standard.py:0:36
	s_or_b64 exec, exec, s[4:5]
	.loc	2 293 36                        ; standard.py:293:36 @[ fused_add_rms_norm_aot.py:184:21 ]
	s_waitcnt lgkmcnt(0)
	v_mov_b32_e32 v62, v61
	s_nop 1
	v_mov_b32_dpp v62, v62 row_shr:4 row_mask:0xf bank_mask:0xa
	s_nop 1
	v_mov_b32_dpp v62, v61 row_shl:4 row_mask:0xf bank_mask:0x5
.Ltmp19:
	.loc	2 263 15 is_stmt 1              ; standard.py:263:15 @[ standard.py:293:36 @[ fused_add_rms_norm_aot.py:184:21 ] ]
	v_add_f32_e32 v61, v61, v62
.Ltmp20:
	.loc	2 293 36                        ; standard.py:293:36 @[ fused_add_rms_norm_aot.py:184:21 ]
	v_mov_b32_e32 v62, v61
	s_nop 1
	v_mov_b32_dpp v62, v62 quad_perm:[2,3,0,1] row_mask:0xf bank_mask:0xf
.Ltmp21:
	.loc	2 263 15                        ; standard.py:263:15 @[ standard.py:293:36 @[ fused_add_rms_norm_aot.py:184:21 ] ]
	v_add_f32_e32 v61, v61, v62
.Ltmp22:
	.loc	2 293 36                        ; standard.py:293:36 @[ fused_add_rms_norm_aot.py:184:21 ]
	v_mov_b32_e32 v62, v61
	s_nop 1
	v_mov_b32_dpp v62, v62 quad_perm:[1,0,3,2] row_mask:0xf bank_mask:0xf
	s_and_saveexec_b64 s[4:5], s[46:47]
	s_cbranch_execz .LBB0_2
; %bb.8:                                ;   in Loop: Header=BB0_3 Depth=1
	.loc	2 0 36 is_stmt 0                ; standard.py:0:36
	v_add_f32_e32 v61, v61, v62
	.loc	2 293 36                        ; standard.py:293:36 @[ fused_add_rms_norm_aot.py:184:21 ]
	ds_write_b32 v49, v61
	s_branch .LBB0_2
.Ltmp23:
.LBB0_9:
	.loc	2 0 36                          ; standard.py:0:36
	v_mov_b32_e32 v7, 0
	v_mov_b32_e32 v6, v40
	;; [unrolled: 1-line block ×8, first 2 shown]
.LBB0_10:                               ; %Flow46
	s_load_dword s0, s[0:1], 0x68
	.loc	1 195 66 is_stmt 1              ; fused_add_rms_norm_aot.py:195:66
	v_lshlrev_b32_e32 v8, 2, v39
	v_bfrev_b32_e32 v9, 1
	s_mov_b32 s3, 0x27000
	s_mov_b32 s2, 0x7ffffffe
	.loc	1 195 37 is_stmt 0              ; fused_add_rms_norm_aot.py:195:37
	s_waitcnt lgkmcnt(0)
	s_mul_hi_i32 s1, s0, s16
	s_mul_i32 s0, s0, s16
	.loc	1 195 22                        ; fused_add_rms_norm_aot.py:195:22
	s_lshl_b64 s[0:1], s[0:1], 2
	s_add_u32 s0, s40, s0
	s_addc_u32 s1, s41, s1
	.loc	1 195 66                        ; fused_add_rms_norm_aot.py:195:66
	s_and_b32 s1, s1, 0xffff
	v_cndmask_b32_e64 v8, v9, v8, s[18:19]
	buffer_store_dword v6, v8, s[0:3], 0 offen
	v_lshlrev_b32_e32 v6, 2, v38
	v_cndmask_b32_e64 v6, v9, v6, s[34:35]
	buffer_store_dword v7, v6, s[0:3], 0 offen
	v_lshlrev_b32_e32 v6, 2, v37
	v_cndmask_b32_e64 v6, v9, v6, s[28:29]
	buffer_store_dword v4, v6, s[0:3], 0 offen
	v_lshlrev_b32_e32 v4, 2, v36
	v_cndmask_b32_e64 v4, v9, v4, s[8:9]
	buffer_store_dword v5, v4, s[0:3], 0 offen
	v_lshlrev_b32_e32 v4, 2, v35
	v_cndmask_b32_e64 v4, v9, v4, s[6:7]
	buffer_store_dword v2, v4, s[0:3], 0 offen
	v_lshlrev_b32_e32 v2, 2, v34
	v_cndmask_b32_e64 v2, v9, v2, s[24:25]
	buffer_store_dword v3, v2, s[0:3], 0 offen
	v_lshlrev_b32_e32 v2, 2, v33
	v_cndmask_b32_e64 v2, v9, v2, s[26:27]
	buffer_store_dword v0, v2, s[0:3], 0 offen
	v_lshlrev_b32_e32 v0, 2, v32
	v_cndmask_b32_e64 v0, v9, v0, s[30:31]
	buffer_store_dword v1, v0, s[0:3], 0 offen
	.loc	1 195 4                         ; fused_add_rms_norm_aot.py:195:4
	s_endpgm
.Ltmp24:
	.section	.rodata,"a",@progbits
	.p2align	6, 0x0
	.amdhsa_kernel _fused_add_rms_norm_backward_kernel
		.amdhsa_group_segment_fixed_size 0
		.amdhsa_private_segment_fixed_size 0
		.amdhsa_kernarg_size 136
		.amdhsa_user_sgpr_count 16
		.amdhsa_user_sgpr_dispatch_ptr 0
		.amdhsa_user_sgpr_queue_ptr 0
		.amdhsa_user_sgpr_kernarg_segment_ptr 1
		.amdhsa_user_sgpr_dispatch_id 0
		.amdhsa_user_sgpr_kernarg_preload_length 14
		.amdhsa_user_sgpr_kernarg_preload_offset 0
		.amdhsa_user_sgpr_private_segment_size 0
		.amdhsa_uses_dynamic_stack 0
		.amdhsa_enable_private_segment 0
		.amdhsa_system_sgpr_workgroup_id_x 1
		.amdhsa_system_sgpr_workgroup_id_y 0
		.amdhsa_system_sgpr_workgroup_id_z 0
		.amdhsa_system_sgpr_workgroup_info 0
		.amdhsa_system_vgpr_workitem_id 0
		.amdhsa_next_free_vgpr 70
		.amdhsa_next_free_sgpr 60
		.amdhsa_accum_offset 72
		.amdhsa_reserve_vcc 1
		.amdhsa_reserve_xnack_mask 1
		.amdhsa_float_round_mode_32 0
		.amdhsa_float_round_mode_16_64 0
		.amdhsa_float_denorm_mode_32 3
		.amdhsa_float_denorm_mode_16_64 3
		.amdhsa_dx10_clamp 1
		.amdhsa_ieee_mode 1
		.amdhsa_fp16_overflow 0
		.amdhsa_tg_split 0
		.amdhsa_exception_fp_ieee_invalid_op 0
		.amdhsa_exception_fp_denorm_src 0
		.amdhsa_exception_fp_ieee_div_zero 0
		.amdhsa_exception_fp_ieee_overflow 0
		.amdhsa_exception_fp_ieee_underflow 0
		.amdhsa_exception_fp_ieee_inexact 0
		.amdhsa_exception_int_div_zero 0
	.end_amdhsa_kernel
	.text
.Lfunc_end0:
	.size	_fused_add_rms_norm_backward_kernel, .Lfunc_end0-_fused_add_rms_norm_backward_kernel
	.cfi_endproc
                                        ; -- End function
	.set _fused_add_rms_norm_backward_kernel.num_vgpr, 70
	.set _fused_add_rms_norm_backward_kernel.num_agpr, 0
	.set _fused_add_rms_norm_backward_kernel.numbered_sgpr, 60
	.set _fused_add_rms_norm_backward_kernel.num_named_barrier, 0
	.set _fused_add_rms_norm_backward_kernel.private_seg_size, 0
	.set _fused_add_rms_norm_backward_kernel.uses_vcc, 1
	.set _fused_add_rms_norm_backward_kernel.uses_flat_scratch, 0
	.set _fused_add_rms_norm_backward_kernel.has_dyn_sized_stack, 0
	.set _fused_add_rms_norm_backward_kernel.has_recursion, 0
	.set _fused_add_rms_norm_backward_kernel.has_indirect_call, 0
	.section	.AMDGPU.csdata,"",@progbits
; Kernel info:
; codeLenInByte = 2468
; TotalNumSgprs: 66
; NumVgprs: 70
; NumAgprs: 0
; TotalNumVgprs: 70
; ScratchSize: 0
; MemoryBound: 0
; FloatMode: 240
; IeeeMode: 1
; LDSByteSize: 0 bytes/workgroup (compile time only)
; SGPRBlocks: 8
; VGPRBlocks: 8
; NumSGPRsForWavesPerEU: 66
; NumVGPRsForWavesPerEU: 70
; AccumOffset: 72
; Occupancy: 7
; WaveLimiterHint : 0
; COMPUTE_PGM_RSRC2:SCRATCH_EN: 0
; COMPUTE_PGM_RSRC2:USER_SGPR: 16
; COMPUTE_PGM_RSRC2:TRAP_HANDLER: 0
; COMPUTE_PGM_RSRC2:TGID_X_EN: 1
; COMPUTE_PGM_RSRC2:TGID_Y_EN: 0
; COMPUTE_PGM_RSRC2:TGID_Z_EN: 0
; COMPUTE_PGM_RSRC2:TIDIG_COMP_CNT: 0
; COMPUTE_PGM_RSRC3_GFX90A:ACCUM_OFFSET: 17
; COMPUTE_PGM_RSRC3_GFX90A:TG_SPLIT: 0
	.text
	.p2alignl 6, 3212836864
	.fill 256, 4, 3212836864
	.section	.AMDGPU.gpr_maximums,"",@progbits
	.set amdgpu.max_num_vgpr, 0
	.set amdgpu.max_num_agpr, 0
	.set amdgpu.max_num_sgpr, 0
	.set amdgpu.max_num_named_barrier, 0
	.text
	.section	.debug_abbrev,"",@progbits
	.byte	1                               ; Abbreviation Code
	.byte	17                              ; DW_TAG_compile_unit
	.byte	1                               ; DW_CHILDREN_yes
	.byte	37                              ; DW_AT_producer
	.byte	14                              ; DW_FORM_strp
	.byte	19                              ; DW_AT_language
	.byte	5                               ; DW_FORM_data2
	.byte	3                               ; DW_AT_name
	.byte	14                              ; DW_FORM_strp
	.byte	16                              ; DW_AT_stmt_list
	.byte	23                              ; DW_FORM_sec_offset
	.byte	27                              ; DW_AT_comp_dir
	.byte	14                              ; DW_FORM_strp
	.byte	17                              ; DW_AT_low_pc
	.byte	1                               ; DW_FORM_addr
	.byte	18                              ; DW_AT_high_pc
	.byte	6                               ; DW_FORM_data4
	.byte	0                               ; EOM(1)
	.byte	0                               ; EOM(2)
	.byte	2                               ; Abbreviation Code
	.byte	46                              ; DW_TAG_subprogram
	.byte	0                               ; DW_CHILDREN_no
	.byte	3                               ; DW_AT_name
	.byte	14                              ; DW_FORM_strp
	.byte	32                              ; DW_AT_inline
	.byte	11                              ; DW_FORM_data1
	.byte	0                               ; EOM(1)
	.byte	0                               ; EOM(2)
	.byte	3                               ; Abbreviation Code
	.byte	46                              ; DW_TAG_subprogram
	.byte	1                               ; DW_CHILDREN_yes
	.byte	17                              ; DW_AT_low_pc
	.byte	1                               ; DW_FORM_addr
	.byte	18                              ; DW_AT_high_pc
	.byte	6                               ; DW_FORM_data4
	.byte	49                              ; DW_AT_abstract_origin
	.byte	19                              ; DW_FORM_ref4
	.byte	0                               ; EOM(1)
	.byte	0                               ; EOM(2)
	.byte	4                               ; Abbreviation Code
	.byte	29                              ; DW_TAG_inlined_subroutine
	.byte	1                               ; DW_CHILDREN_yes
	.byte	49                              ; DW_AT_abstract_origin
	.byte	19                              ; DW_FORM_ref4
	.byte	85                              ; DW_AT_ranges
	.byte	23                              ; DW_FORM_sec_offset
	.byte	88                              ; DW_AT_call_file
	.byte	11                              ; DW_FORM_data1
	.byte	89                              ; DW_AT_call_line
	.byte	11                              ; DW_FORM_data1
	.byte	87                              ; DW_AT_call_column
	.byte	11                              ; DW_FORM_data1
	.byte	0                               ; EOM(1)
	.byte	0                               ; EOM(2)
	.byte	5                               ; Abbreviation Code
	.byte	29                              ; DW_TAG_inlined_subroutine
	.byte	0                               ; DW_CHILDREN_no
	.byte	49                              ; DW_AT_abstract_origin
	.byte	19                              ; DW_FORM_ref4
	.byte	85                              ; DW_AT_ranges
	.byte	23                              ; DW_FORM_sec_offset
	.byte	88                              ; DW_AT_call_file
	.byte	11                              ; DW_FORM_data1
	.byte	89                              ; DW_AT_call_line
	.byte	5                               ; DW_FORM_data2
	.byte	87                              ; DW_AT_call_column
	.byte	11                              ; DW_FORM_data1
	.byte	0                               ; EOM(1)
	.byte	0                               ; EOM(2)
	;; [unrolled: 1-line block ×3, first 2 shown]
	.section	.debug_info,"",@progbits
.Lcu_begin0:
	.long	.Ldebug_info_end0-.Ldebug_info_start0 ; Length of Unit
.Ldebug_info_start0:
	.short	4                               ; DWARF version number
	.long	.debug_abbrev                   ; Offset Into Abbrev. Section
	.byte	8                               ; Address Size (in bytes)
	.byte	1                               ; Abbrev [1] 0xb:0x52 DW_TAG_compile_unit
	.long	.Linfo_string0                  ; DW_AT_producer
	.short	2                               ; DW_AT_language
	.long	.Linfo_string1                  ; DW_AT_name
	.long	.Lline_table_start0             ; DW_AT_stmt_list
	.long	.Linfo_string2                  ; DW_AT_comp_dir
	.quad	.Lfunc_begin0                   ; DW_AT_low_pc
	.long	.Lfunc_end0-.Lfunc_begin0       ; DW_AT_high_pc
	.byte	2                               ; Abbrev [2] 0x2a:0x6 DW_TAG_subprogram
	.long	.Linfo_string3                  ; DW_AT_name
	.byte	1                               ; DW_AT_inline
	.byte	3                               ; Abbrev [3] 0x30:0x2c DW_TAG_subprogram
	.quad	.Lfunc_begin0                   ; DW_AT_low_pc
	.long	.Lfunc_end0-.Lfunc_begin0       ; DW_AT_high_pc
	.long	42                              ; DW_AT_abstract_origin
	.byte	4                               ; Abbrev [4] 0x41:0x1a DW_TAG_inlined_subroutine
	.long	42                              ; DW_AT_abstract_origin
	.long	.Ldebug_ranges0                 ; DW_AT_ranges
	.byte	1                               ; DW_AT_call_file
	.byte	184                             ; DW_AT_call_line
	.byte	21                              ; DW_AT_call_column
	.byte	5                               ; Abbrev [5] 0x4d:0xd DW_TAG_inlined_subroutine
	.long	42                              ; DW_AT_abstract_origin
	.long	.Ldebug_ranges1                 ; DW_AT_ranges
	.byte	2                               ; DW_AT_call_file
	.short	293                             ; DW_AT_call_line
	.byte	36                              ; DW_AT_call_column
	.byte	0                               ; End Of Children Mark
	.byte	0                               ; End Of Children Mark
	;; [unrolled: 1-line block ×3, first 2 shown]
.Ldebug_info_end0:
	.section	.debug_ranges,"",@progbits
.Ldebug_ranges0:
	.quad	.Ltmp1-.Lfunc_begin0
	.quad	.Ltmp2-.Lfunc_begin0
	;; [unrolled: 1-line block ×16, first 2 shown]
	.quad	0
	.quad	0
.Ldebug_ranges1:
	.quad	.Ltmp9-.Lfunc_begin0
	.quad	.Ltmp10-.Lfunc_begin0
	;; [unrolled: 1-line block ×12, first 2 shown]
	.quad	0
	.quad	0
	.section	.debug_str,"MS",@progbits,1
.Linfo_string0:
	.asciz	"triton"                        ; string offset=0
.Linfo_string1:
	.asciz	"fused_add_rms_norm_aot.py"     ; string offset=7
.Linfo_string2:
	.asciz	"/root/src/amdgpu-assembly/repos/linkedin__Liger-Kernel/triton_aot_kernels" ; string offset=33
.Linfo_string3:
	.asciz	"_fused_add_rms_norm_backward_kernel" ; string offset=107
	.section	".note.GNU-stack","",@progbits
	.amdgpu_metadata
---
amdhsa.kernels:
  - .agpr_count:     0
    .args:
      - .address_space:  global
        .offset:         0
        .size:           8
        .value_kind:     global_buffer
      - .offset:         8
        .size:           4
        .value_kind:     by_value
      - .address_space:  global
        .offset:         16
        .size:           8
        .value_kind:     global_buffer
      - .offset:         24
        .size:           4
        .value_kind:     by_value
      - .address_space:  global
        .offset:         32
        .size:           8
        .value_kind:     global_buffer
      - .offset:         40
        .size:           4
        .value_kind:     by_value
      - .address_space:  global
        .offset:         48
        .size:           8
        .value_kind:     global_buffer
      - .offset:         56
        .size:           4
        .value_kind:     by_value
      - .address_space:  global
        .offset:         64
        .size:           8
        .value_kind:     global_buffer
      - .offset:         72
        .size:           4
        .value_kind:     by_value
      - .address_space:  global
        .offset:         80
        .size:           8
        .value_kind:     global_buffer
      - .offset:         88
        .size:           4
        .value_kind:     by_value
      - .address_space:  global
        .offset:         96
        .size:           8
        .value_kind:     global_buffer
      - .offset:         104
        .size:           4
        .value_kind:     by_value
      - .offset:         108
        .size:           4
        .value_kind:     by_value
      - .offset:         112
        .size:           4
        .value_kind:     by_value
      - .offset:         116
        .size:           4
        .value_kind:     by_value
      - .address_space:  global
        .offset:         120
        .size:           8
        .value_kind:     global_buffer
      - .address_space:  global
        .offset:         128
        .size:           8
        .value_kind:     global_buffer
    .group_segment_fixed_size: 0
    .kernarg_segment_align: 8
    .kernarg_segment_size: 136
    .max_flat_workgroup_size: 512
    .name:           _fused_add_rms_norm_backward_kernel
    .private_segment_fixed_size: 0
    .sgpr_count:     66
    .sgpr_spill_count: 0
    .symbol:         _fused_add_rms_norm_backward_kernel.kd
    .uniform_work_group_size: 1
    .uses_dynamic_stack: false
    .vgpr_count:     70
    .vgpr_spill_count: 0
    .wavefront_size: 64
amdhsa.target:   amdgcn-amd-amdhsa--gfx950
amdhsa.version:
  - 1
  - 2
...

	.end_amdgpu_metadata
	.section	.debug_line,"",@progbits
.Lline_table_start0:
